;; amdgpu-corpus repo=ROCm/rocFFT kind=compiled arch=gfx1030 opt=O3
	.text
	.amdgcn_target "amdgcn-amd-amdhsa--gfx1030"
	.amdhsa_code_object_version 6
	.protected	fft_rtc_fwd_len726_factors_11_6_11_wgs_132_tpt_66_sp_ip_CI_sbrr_dirReg ; -- Begin function fft_rtc_fwd_len726_factors_11_6_11_wgs_132_tpt_66_sp_ip_CI_sbrr_dirReg
	.globl	fft_rtc_fwd_len726_factors_11_6_11_wgs_132_tpt_66_sp_ip_CI_sbrr_dirReg
	.p2align	8
	.type	fft_rtc_fwd_len726_factors_11_6_11_wgs_132_tpt_66_sp_ip_CI_sbrr_dirReg,@function
fft_rtc_fwd_len726_factors_11_6_11_wgs_132_tpt_66_sp_ip_CI_sbrr_dirReg: ; @fft_rtc_fwd_len726_factors_11_6_11_wgs_132_tpt_66_sp_ip_CI_sbrr_dirReg
; %bb.0:
	s_clause 0x2
	s_load_dwordx2 s[14:15], s[4:5], 0x18
	s_load_dwordx4 s[8:11], s[4:5], 0x0
	s_load_dwordx2 s[12:13], s[4:5], 0x50
	v_mul_u32_u24_e32 v1, 0x3e1, v0
	v_mov_b32_e32 v3, 0
	v_lshrrev_b32_e32 v24, 16, v1
	v_mov_b32_e32 v1, 0
	v_mov_b32_e32 v6, v3
	v_mov_b32_e32 v2, 0
	v_lshl_add_u32 v5, s6, 1, v24
	s_waitcnt lgkmcnt(0)
	s_load_dwordx2 s[2:3], s[14:15], 0x0
	v_cmp_lt_u64_e64 s0, s[10:11], 2
	s_and_b32 vcc_lo, exec_lo, s0
	s_cbranch_vccnz .LBB0_8
; %bb.1:
	s_load_dwordx2 s[0:1], s[4:5], 0x10
	v_mov_b32_e32 v1, 0
	s_add_u32 s6, s14, 8
	v_mov_b32_e32 v2, 0
	s_addc_u32 s7, s15, 0
	s_mov_b64 s[18:19], 1
	s_waitcnt lgkmcnt(0)
	s_add_u32 s16, s0, 8
	s_addc_u32 s17, s1, 0
.LBB0_2:                                ; =>This Inner Loop Header: Depth=1
	s_load_dwordx2 s[20:21], s[16:17], 0x0
                                        ; implicit-def: $vgpr7_vgpr8
	s_mov_b32 s0, exec_lo
	s_waitcnt lgkmcnt(0)
	v_or_b32_e32 v4, s21, v6
	v_cmpx_ne_u64_e32 0, v[3:4]
	s_xor_b32 s1, exec_lo, s0
	s_cbranch_execz .LBB0_4
; %bb.3:                                ;   in Loop: Header=BB0_2 Depth=1
	v_cvt_f32_u32_e32 v4, s20
	v_cvt_f32_u32_e32 v7, s21
	s_sub_u32 s0, 0, s20
	s_subb_u32 s22, 0, s21
	v_fmac_f32_e32 v4, 0x4f800000, v7
	v_rcp_f32_e32 v4, v4
	v_mul_f32_e32 v4, 0x5f7ffffc, v4
	v_mul_f32_e32 v7, 0x2f800000, v4
	v_trunc_f32_e32 v7, v7
	v_fmac_f32_e32 v4, 0xcf800000, v7
	v_cvt_u32_f32_e32 v7, v7
	v_cvt_u32_f32_e32 v4, v4
	v_mul_lo_u32 v8, s0, v7
	v_mul_hi_u32 v9, s0, v4
	v_mul_lo_u32 v10, s22, v4
	v_add_nc_u32_e32 v8, v9, v8
	v_mul_lo_u32 v9, s0, v4
	v_add_nc_u32_e32 v8, v8, v10
	v_mul_hi_u32 v10, v4, v9
	v_mul_lo_u32 v11, v4, v8
	v_mul_hi_u32 v12, v4, v8
	v_mul_hi_u32 v13, v7, v9
	v_mul_lo_u32 v9, v7, v9
	v_mul_hi_u32 v14, v7, v8
	v_mul_lo_u32 v8, v7, v8
	v_add_co_u32 v10, vcc_lo, v10, v11
	v_add_co_ci_u32_e32 v11, vcc_lo, 0, v12, vcc_lo
	v_add_co_u32 v9, vcc_lo, v10, v9
	v_add_co_ci_u32_e32 v9, vcc_lo, v11, v13, vcc_lo
	v_add_co_ci_u32_e32 v10, vcc_lo, 0, v14, vcc_lo
	v_add_co_u32 v8, vcc_lo, v9, v8
	v_add_co_ci_u32_e32 v9, vcc_lo, 0, v10, vcc_lo
	v_add_co_u32 v4, vcc_lo, v4, v8
	v_add_co_ci_u32_e32 v7, vcc_lo, v7, v9, vcc_lo
	v_mul_hi_u32 v8, s0, v4
	v_mul_lo_u32 v10, s22, v4
	v_mul_lo_u32 v9, s0, v7
	v_add_nc_u32_e32 v8, v8, v9
	v_mul_lo_u32 v9, s0, v4
	v_add_nc_u32_e32 v8, v8, v10
	v_mul_hi_u32 v10, v4, v9
	v_mul_lo_u32 v11, v4, v8
	v_mul_hi_u32 v12, v4, v8
	v_mul_hi_u32 v13, v7, v9
	v_mul_lo_u32 v9, v7, v9
	v_mul_hi_u32 v14, v7, v8
	v_mul_lo_u32 v8, v7, v8
	v_add_co_u32 v10, vcc_lo, v10, v11
	v_add_co_ci_u32_e32 v11, vcc_lo, 0, v12, vcc_lo
	v_add_co_u32 v9, vcc_lo, v10, v9
	v_add_co_ci_u32_e32 v9, vcc_lo, v11, v13, vcc_lo
	v_add_co_ci_u32_e32 v10, vcc_lo, 0, v14, vcc_lo
	v_add_co_u32 v8, vcc_lo, v9, v8
	v_add_co_ci_u32_e32 v9, vcc_lo, 0, v10, vcc_lo
	v_add_co_u32 v4, vcc_lo, v4, v8
	v_add_co_ci_u32_e32 v11, vcc_lo, v7, v9, vcc_lo
	v_mul_hi_u32 v13, v5, v4
	v_mad_u64_u32 v[9:10], null, v6, v4, 0
	v_mad_u64_u32 v[7:8], null, v5, v11, 0
	;; [unrolled: 1-line block ×3, first 2 shown]
	v_add_co_u32 v4, vcc_lo, v13, v7
	v_add_co_ci_u32_e32 v7, vcc_lo, 0, v8, vcc_lo
	v_add_co_u32 v4, vcc_lo, v4, v9
	v_add_co_ci_u32_e32 v4, vcc_lo, v7, v10, vcc_lo
	v_add_co_ci_u32_e32 v7, vcc_lo, 0, v12, vcc_lo
	v_add_co_u32 v4, vcc_lo, v4, v11
	v_add_co_ci_u32_e32 v9, vcc_lo, 0, v7, vcc_lo
	v_mul_lo_u32 v10, s21, v4
	v_mad_u64_u32 v[7:8], null, s20, v4, 0
	v_mul_lo_u32 v11, s20, v9
	v_sub_co_u32 v7, vcc_lo, v5, v7
	v_add3_u32 v8, v8, v11, v10
	v_sub_nc_u32_e32 v10, v6, v8
	v_subrev_co_ci_u32_e64 v10, s0, s21, v10, vcc_lo
	v_add_co_u32 v11, s0, v4, 2
	v_add_co_ci_u32_e64 v12, s0, 0, v9, s0
	v_sub_co_u32 v13, s0, v7, s20
	v_sub_co_ci_u32_e32 v8, vcc_lo, v6, v8, vcc_lo
	v_subrev_co_ci_u32_e64 v10, s0, 0, v10, s0
	v_cmp_le_u32_e32 vcc_lo, s20, v13
	v_cmp_eq_u32_e64 s0, s21, v8
	v_cndmask_b32_e64 v13, 0, -1, vcc_lo
	v_cmp_le_u32_e32 vcc_lo, s21, v10
	v_cndmask_b32_e64 v14, 0, -1, vcc_lo
	v_cmp_le_u32_e32 vcc_lo, s20, v7
	;; [unrolled: 2-line block ×3, first 2 shown]
	v_cndmask_b32_e64 v15, 0, -1, vcc_lo
	v_cmp_eq_u32_e32 vcc_lo, s21, v10
	v_cndmask_b32_e64 v7, v15, v7, s0
	v_cndmask_b32_e32 v10, v14, v13, vcc_lo
	v_add_co_u32 v13, vcc_lo, v4, 1
	v_add_co_ci_u32_e32 v14, vcc_lo, 0, v9, vcc_lo
	v_cmp_ne_u32_e32 vcc_lo, 0, v10
	v_cndmask_b32_e32 v8, v14, v12, vcc_lo
	v_cndmask_b32_e32 v10, v13, v11, vcc_lo
	v_cmp_ne_u32_e32 vcc_lo, 0, v7
	v_cndmask_b32_e32 v8, v9, v8, vcc_lo
	v_cndmask_b32_e32 v7, v4, v10, vcc_lo
.LBB0_4:                                ;   in Loop: Header=BB0_2 Depth=1
	s_andn2_saveexec_b32 s0, s1
	s_cbranch_execz .LBB0_6
; %bb.5:                                ;   in Loop: Header=BB0_2 Depth=1
	v_cvt_f32_u32_e32 v4, s20
	s_sub_i32 s1, 0, s20
	v_rcp_iflag_f32_e32 v4, v4
	v_mul_f32_e32 v4, 0x4f7ffffe, v4
	v_cvt_u32_f32_e32 v4, v4
	v_mul_lo_u32 v7, s1, v4
	v_mul_hi_u32 v7, v4, v7
	v_add_nc_u32_e32 v4, v4, v7
	v_mul_hi_u32 v4, v5, v4
	v_mul_lo_u32 v7, v4, s20
	v_add_nc_u32_e32 v8, 1, v4
	v_sub_nc_u32_e32 v7, v5, v7
	v_subrev_nc_u32_e32 v9, s20, v7
	v_cmp_le_u32_e32 vcc_lo, s20, v7
	v_cndmask_b32_e32 v7, v7, v9, vcc_lo
	v_cndmask_b32_e32 v4, v4, v8, vcc_lo
	v_cmp_le_u32_e32 vcc_lo, s20, v7
	v_add_nc_u32_e32 v8, 1, v4
	v_cndmask_b32_e32 v7, v4, v8, vcc_lo
	v_mov_b32_e32 v8, v3
.LBB0_6:                                ;   in Loop: Header=BB0_2 Depth=1
	s_or_b32 exec_lo, exec_lo, s0
	s_load_dwordx2 s[0:1], s[6:7], 0x0
	v_mul_lo_u32 v4, v8, s20
	v_mul_lo_u32 v11, v7, s21
	v_mad_u64_u32 v[9:10], null, v7, s20, 0
	s_add_u32 s18, s18, 1
	s_addc_u32 s19, s19, 0
	s_add_u32 s6, s6, 8
	s_addc_u32 s7, s7, 0
	s_add_u32 s16, s16, 8
	s_addc_u32 s17, s17, 0
	v_add3_u32 v4, v10, v11, v4
	v_sub_co_u32 v5, vcc_lo, v5, v9
	v_sub_co_ci_u32_e32 v4, vcc_lo, v6, v4, vcc_lo
	s_waitcnt lgkmcnt(0)
	v_mul_lo_u32 v6, s1, v5
	v_mul_lo_u32 v4, s0, v4
	v_mad_u64_u32 v[1:2], null, s0, v5, v[1:2]
	v_cmp_ge_u64_e64 s0, s[18:19], s[10:11]
	s_and_b32 vcc_lo, exec_lo, s0
	v_add3_u32 v2, v6, v2, v4
	s_cbranch_vccnz .LBB0_9
; %bb.7:                                ;   in Loop: Header=BB0_2 Depth=1
	v_mov_b32_e32 v5, v7
	v_mov_b32_e32 v6, v8
	s_branch .LBB0_2
.LBB0_8:
	v_mov_b32_e32 v8, v6
	v_mov_b32_e32 v7, v5
.LBB0_9:
	s_lshl_b64 s[0:1], s[10:11], 3
	v_mul_hi_u32 v3, 0x3e0f83f, v0
	s_add_u32 s0, s14, s0
	s_addc_u32 s1, s15, s1
                                        ; implicit-def: $sgpr6
	s_load_dwordx2 s[0:1], s[0:1], 0x0
	s_load_dwordx2 s[4:5], s[4:5], 0x20
	v_mul_u32_u24_e32 v3, 0x42, v3
	v_sub_nc_u32_e32 v26, v0, v3
	v_add_nc_u32_e32 v27, 0x42, v26
	s_waitcnt lgkmcnt(0)
	v_mul_lo_u32 v4, s0, v8
	v_mul_lo_u32 v5, s1, v7
	v_mad_u64_u32 v[1:2], null, s0, v7, v[1:2]
	v_cmp_gt_u64_e32 vcc_lo, s[4:5], v[7:8]
	v_cmp_le_u64_e64 s0, s[4:5], v[7:8]
                                        ; implicit-def: $sgpr4_sgpr5
	v_add3_u32 v2, v5, v2, v4
	s_and_saveexec_b32 s1, s0
	s_xor_b32 s0, exec_lo, s1
; %bb.10:
	v_add_nc_u32_e32 v27, 0x42, v26
	s_mov_b32 s6, 0
	s_mov_b64 s[4:5], 0
; %bb.11:
	s_or_saveexec_b32 s1, s0
	v_lshlrev_b64 v[20:21], 3, v[1:2]
	v_mov_b32_e32 v11, s5
	v_mov_b32_e32 v31, s6
	;; [unrolled: 1-line block ×3, first 2 shown]
                                        ; implicit-def: $vgpr19
                                        ; implicit-def: $vgpr13
                                        ; implicit-def: $vgpr5
                                        ; implicit-def: $vgpr7
                                        ; implicit-def: $vgpr1
                                        ; implicit-def: $vgpr23
                                        ; implicit-def: $vgpr17
                                        ; implicit-def: $vgpr15
                                        ; implicit-def: $vgpr9
                                        ; implicit-def: $vgpr3
	s_xor_b32 exec_lo, exec_lo, s1
	s_cbranch_execz .LBB0_13
; %bb.12:
	v_add_nc_u32_e32 v10, 0x84, v26
	v_mad_u64_u32 v[0:1], null, s2, v26, 0
	v_mad_u64_u32 v[2:3], null, s2, v27, 0
	;; [unrolled: 1-line block ×3, first 2 shown]
	v_add_nc_u32_e32 v11, 0xc6, v26
	v_add_co_u32 v25, s0, s12, v20
	v_add_co_ci_u32_e64 v34, s0, s13, v21, s0
	v_mad_u64_u32 v[6:7], null, s3, v26, v[1:2]
	v_mad_u64_u32 v[7:8], null, s3, v27, v[3:4]
	v_mad_u64_u32 v[8:9], null, s2, v11, 0
	v_add_nc_u32_e32 v28, 0x18c, v26
	v_add_nc_u32_e32 v29, 0x1ce, v26
	v_mov_b32_e32 v1, v6
	v_mad_u64_u32 v[5:6], null, s3, v10, v[5:6]
	v_mov_b32_e32 v3, v7
	v_mov_b32_e32 v6, v9
	v_add_nc_u32_e32 v10, 0x108, v26
	v_lshlrev_b64 v[0:1], 3, v[0:1]
	v_mad_u64_u32 v[22:23], null, s2, v28, 0
	v_mad_u64_u32 v[6:7], null, s3, v11, v[6:7]
	;; [unrolled: 1-line block ×3, first 2 shown]
	v_add_nc_u32_e32 v11, 0x14a, v26
	v_lshlrev_b64 v[2:3], 3, v[2:3]
	v_add_co_u32 v0, s0, v25, v0
	v_mov_b32_e32 v9, v6
	v_lshlrev_b64 v[4:5], 3, v[4:5]
	v_mov_b32_e32 v6, v15
	v_mad_u64_u32 v[16:17], null, s2, v11, 0
	v_lshlrev_b64 v[7:8], 3, v[8:9]
	v_add_co_ci_u32_e64 v1, s0, v34, v1, s0
	v_add_co_u32 v2, s0, v25, v2
	v_add_co_ci_u32_e64 v3, s0, v34, v3, s0
	v_mad_u64_u32 v[9:10], null, s3, v10, v[6:7]
	v_add_co_u32 v4, s0, v25, v4
	v_add_co_ci_u32_e64 v5, s0, v34, v5, s0
	v_mov_b32_e32 v6, v17
	v_add_co_u32 v7, s0, v25, v7
	v_add_co_ci_u32_e64 v8, s0, v34, v8, s0
	v_mov_b32_e32 v15, v9
	v_mad_u64_u32 v[9:10], null, s3, v11, v[6:7]
	s_clause 0x3
	global_load_dwordx2 v[10:11], v[0:1], off
	global_load_dwordx2 v[18:19], v[2:3], off
	;; [unrolled: 1-line block ×4, first 2 shown]
	v_mov_b32_e32 v2, v23
	v_mad_u64_u32 v[6:7], null, s2, v29, 0
	v_add_nc_u32_e32 v30, 0x210, v26
	v_add_nc_u32_e32 v31, 0x252, v26
	v_mad_u64_u32 v[2:3], null, s3, v28, v[2:3]
	v_mov_b32_e32 v17, v9
	v_mad_u64_u32 v[8:9], null, s2, v30, 0
	v_mov_b32_e32 v3, v7
	v_lshlrev_b64 v[0:1], 3, v[14:15]
	v_lshlrev_b64 v[14:15], 3, v[16:17]
	v_mad_u64_u32 v[16:17], null, s2, v31, 0
	v_mov_b32_e32 v23, v2
	v_add_nc_u32_e32 v32, 0x294, v26
	v_add_co_u32 v0, s0, v25, v0
	v_add_co_ci_u32_e64 v1, s0, v34, v1, s0
	v_lshlrev_b64 v[22:23], 3, v[22:23]
	v_add_co_u32 v14, s0, v25, v14
	v_add_co_ci_u32_e64 v15, s0, v34, v15, s0
	v_add_co_u32 v22, s0, v25, v22
	v_add_co_ci_u32_e64 v23, s0, v34, v23, s0
	s_waitcnt vmcnt(0)
	v_mad_u64_u32 v[2:3], null, s3, v29, v[3:4]
	v_mov_b32_e32 v3, v9
	v_mad_u64_u32 v[28:29], null, s3, v30, v[3:4]
	v_mad_u64_u32 v[29:30], null, s2, v32, 0
	v_mov_b32_e32 v3, v17
	v_mov_b32_e32 v7, v2
	;; [unrolled: 1-line block ×3, first 2 shown]
	v_mad_u64_u32 v[2:3], null, s3, v31, v[3:4]
	v_mov_b32_e32 v3, v30
	v_lshlrev_b64 v[6:7], 3, v[6:7]
	v_lshlrev_b64 v[8:9], 3, v[8:9]
	v_mad_u64_u32 v[30:31], null, s3, v32, v[3:4]
	v_mov_b32_e32 v17, v2
	v_add_co_u32 v31, s0, v25, v6
	v_add_co_ci_u32_e64 v32, s0, v34, v7, s0
	v_lshlrev_b64 v[2:3], 3, v[16:17]
	v_add_co_u32 v16, s0, v25, v8
	v_lshlrev_b64 v[6:7], 3, v[29:30]
	v_add_co_ci_u32_e64 v17, s0, v34, v9, s0
	v_add_co_u32 v28, s0, v25, v2
	v_add_co_ci_u32_e64 v29, s0, v34, v3, s0
	v_add_co_u32 v33, s0, v25, v6
	v_add_co_ci_u32_e64 v34, s0, v34, v7, s0
	s_clause 0x6
	global_load_dwordx2 v[6:7], v[0:1], off
	global_load_dwordx2 v[0:1], v[14:15], off
	;; [unrolled: 1-line block ×7, first 2 shown]
	v_mov_b32_e32 v31, v26
.LBB0_13:
	s_or_b32 exec_lo, exec_lo, s1
	v_add_f32_e32 v25, v18, v10
	v_add_f32_e32 v28, v19, v11
	v_and_b32_e32 v24, 1, v24
	s_waitcnt vmcnt(0)
	v_add_f32_e32 v29, v18, v22
	v_sub_f32_e32 v18, v18, v22
	v_add_f32_e32 v25, v12, v25
	v_add_f32_e32 v28, v13, v28
	;; [unrolled: 1-line block ×3, first 2 shown]
	v_sub_f32_e32 v19, v19, v23
	v_cmp_eq_u32_e64 s0, 1, v24
	v_add_f32_e32 v25, v4, v25
	v_add_f32_e32 v28, v5, v28
	v_mul_f32_e32 v24, 0x3f575c64, v29
	v_mul_f32_e32 v35, 0xbf68dda4, v18
	v_mul_f32_e32 v36, 0xbe11bafb, v29
	v_add_f32_e32 v25, v6, v25
	v_add_f32_e32 v28, v7, v28
	;; [unrolled: 1-line block ×3, first 2 shown]
	v_mul_f32_e32 v33, 0xbf0a6770, v18
	v_mul_f32_e32 v34, 0x3ed4b147, v29
	v_add_f32_e32 v25, v0, v25
	v_add_f32_e32 v28, v1, v28
	v_fmamk_f32 v37, v19, 0x3f0a6770, v24
	v_fmamk_f32 v40, v32, 0x3ed4b147, v35
	;; [unrolled: 1-line block ×3, first 2 shown]
	v_add_f32_e32 v25, v2, v25
	v_add_f32_e32 v28, v3, v28
	v_mul_f32_e32 v42, 0xbf27a4f4, v29
	v_mul_f32_e32 v43, 0xbf4178ce, v18
	;; [unrolled: 1-line block ×3, first 2 shown]
	v_add_f32_e32 v25, v8, v25
	v_add_f32_e32 v28, v9, v28
	v_sub_f32_e32 v49, v13, v17
	v_mul_f32_e32 v50, 0x3ed4b147, v47
	v_sub_f32_e32 v12, v12, v16
	v_add_f32_e32 v25, v14, v25
	v_add_f32_e32 v28, v15, v28
	v_fmamk_f32 v38, v32, 0x3f575c64, v33
	v_fmac_f32_e32 v24, 0xbf0a6770, v19
	v_fma_f32 v33, 0x3f575c64, v32, -v33
	v_add_f32_e32 v25, v16, v25
	v_add_f32_e32 v28, v17, v28
	v_fmamk_f32 v39, v19, 0x3f68dda4, v34
	v_fmac_f32_e32 v34, 0xbf68dda4, v19
	v_fma_f32 v35, 0x3ed4b147, v32, -v35
	v_add_f32_e32 v22, v22, v25
	v_mul_f32_e32 v25, 0xbf7d64f0, v18
	v_mul_f32_e32 v18, 0xbe903f40, v18
	v_add_f32_e32 v37, v37, v10
	v_add_f32_e32 v23, v23, v28
	;; [unrolled: 1-line block ×4, first 2 shown]
	v_fmamk_f32 v41, v32, 0xbe11bafb, v25
	v_fmac_f32_e32 v36, 0xbf7d64f0, v19
	v_fma_f32 v25, 0xbe11bafb, v32, -v25
	v_fmamk_f32 v44, v19, 0x3f4178ce, v42
	v_fmamk_f32 v45, v32, 0xbf27a4f4, v43
	v_fmac_f32_e32 v42, 0xbf4178ce, v19
	v_fma_f32 v43, 0xbf27a4f4, v32, -v43
	v_fmamk_f32 v46, v19, 0x3e903f40, v29
	v_fmamk_f32 v48, v32, 0xbf75a155, v18
	v_fmac_f32_e32 v29, 0xbe903f40, v19
	v_fma_f32 v16, 0xbf75a155, v32, -v18
	v_add_f32_e32 v13, v13, v17
	v_fmamk_f32 v17, v49, 0x3f68dda4, v50
	v_mul_f32_e32 v18, 0xbf68dda4, v12
	v_add_f32_e32 v38, v38, v11
	v_add_f32_e32 v24, v24, v10
	;; [unrolled: 1-line block ×18, first 2 shown]
	v_fmamk_f32 v17, v13, 0x3ed4b147, v18
	v_mul_f32_e32 v29, 0xbf27a4f4, v47
	v_fma_f32 v18, 0x3ed4b147, v13, -v18
	v_mul_f32_e32 v32, 0xbf4178ce, v12
	v_mul_f32_e32 v48, 0x3f7d64f0, v12
	v_add_f32_e32 v17, v17, v38
	v_fmamk_f32 v37, v49, 0x3f4178ce, v29
	v_add_f32_e32 v18, v18, v33
	v_fmamk_f32 v33, v13, 0xbf27a4f4, v32
	v_mul_f32_e32 v38, 0xbf75a155, v47
	v_fmac_f32_e32 v29, 0xbf4178ce, v49
	v_add_f32_e32 v37, v37, v39
	v_fma_f32 v32, 0xbf27a4f4, v13, -v32
	v_add_f32_e32 v28, v33, v28
	v_fmamk_f32 v33, v49, 0xbe903f40, v38
	v_add_f32_e32 v29, v29, v34
	v_mul_f32_e32 v34, 0xbe11bafb, v47
	v_mul_f32_e32 v39, 0x3e903f40, v12
	v_fmac_f32_e32 v38, 0x3e903f40, v49
	v_add_f32_e32 v33, v33, v40
	v_add_f32_e32 v32, v32, v35
	v_fmamk_f32 v40, v49, 0xbf7d64f0, v34
	v_fmamk_f32 v35, v13, 0xbf75a155, v39
	v_fma_f32 v39, 0xbf75a155, v13, -v39
	v_add_f32_e32 v36, v38, v36
	v_fmac_f32_e32 v34, 0x3f7d64f0, v49
	v_add_f32_e32 v38, v40, v44
	v_mul_f32_e32 v40, 0x3f575c64, v47
	v_add_f32_e32 v35, v35, v41
	v_add_f32_e32 v25, v39, v25
	v_fmamk_f32 v39, v13, 0xbe11bafb, v48
	v_mul_f32_e32 v12, 0x3f0a6770, v12
	v_fma_f32 v41, 0xbe11bafb, v13, -v48
	v_fmamk_f32 v44, v49, 0xbf0a6770, v40
	v_add_f32_e32 v34, v34, v42
	v_add_f32_e32 v42, v4, v14
	v_sub_f32_e32 v4, v4, v14
	v_add_f32_e32 v39, v39, v45
	v_fmamk_f32 v45, v13, 0x3f575c64, v12
	v_add_f32_e32 v41, v41, v43
	v_add_f32_e32 v43, v44, v46
	v_sub_f32_e32 v14, v5, v15
	v_mul_f32_e32 v44, 0xbe11bafb, v42
	v_fmac_f32_e32 v40, 0x3f0a6770, v49
	v_fma_f32 v12, 0x3f575c64, v13, -v12
	v_add_f32_e32 v5, v5, v15
	v_mul_f32_e32 v13, 0xbf7d64f0, v4
	v_fmac_f32_e32 v50, 0xbf68dda4, v49
	v_fmamk_f32 v15, v14, 0x3f7d64f0, v44
	v_add_f32_e32 v10, v40, v10
	v_add_f32_e32 v11, v12, v11
	v_mul_f32_e32 v12, 0xbf75a155, v42
	v_fmamk_f32 v40, v5, 0xbe11bafb, v13
	v_add_f32_e32 v24, v50, v24
	v_add_f32_e32 v15, v15, v16
	v_fmac_f32_e32 v44, 0xbf7d64f0, v14
	v_fmamk_f32 v16, v14, 0xbe903f40, v12
	v_add_f32_e32 v17, v40, v17
	v_mul_f32_e32 v40, 0x3e903f40, v4
	v_fmac_f32_e32 v12, 0x3e903f40, v14
	v_add_f32_e32 v24, v44, v24
	v_add_f32_e32 v16, v16, v37
	v_mul_f32_e32 v44, 0x3f68dda4, v4
	v_fmamk_f32 v37, v5, 0xbf75a155, v40
	v_fma_f32 v40, 0xbf75a155, v5, -v40
	v_fma_f32 v13, 0xbe11bafb, v5, -v13
	v_add_f32_e32 v12, v12, v29
	v_add_f32_e32 v19, v45, v19
	;; [unrolled: 1-line block ×4, first 2 shown]
	v_fmamk_f32 v32, v5, 0x3ed4b147, v44
	v_add_f32_e32 v13, v13, v18
	v_mul_f32_e32 v18, 0x3ed4b147, v42
	v_fma_f32 v40, 0x3ed4b147, v5, -v44
	v_mul_f32_e32 v37, 0x3f575c64, v42
	v_add_f32_e32 v32, v32, v35
	v_mul_f32_e32 v35, 0xbf0a6770, v4
	v_fmamk_f32 v45, v14, 0xbf68dda4, v18
	v_fmac_f32_e32 v18, 0x3f68dda4, v14
	v_add_f32_e32 v25, v40, v25
	v_mul_f32_e32 v4, 0xbf4178ce, v4
	v_fmamk_f32 v40, v5, 0x3f575c64, v35
	v_fma_f32 v35, 0x3f575c64, v5, -v35
	v_add_f32_e32 v18, v18, v36
	v_mul_f32_e32 v36, 0xbf27a4f4, v42
	v_fmamk_f32 v44, v14, 0x3f0a6770, v37
	v_add_f32_e32 v39, v40, v39
	v_add_f32_e32 v40, v6, v8
	v_sub_f32_e32 v6, v6, v8
	v_fmac_f32_e32 v37, 0xbf0a6770, v14
	v_fmamk_f32 v42, v14, 0x3f4178ce, v36
	v_add_f32_e32 v35, v35, v41
	v_fmamk_f32 v41, v5, 0xbf27a4f4, v4
	v_fmac_f32_e32 v36, 0xbf4178ce, v14
	v_sub_f32_e32 v8, v7, v9
	v_mul_f32_e32 v14, 0xbf27a4f4, v40
	v_fma_f32 v4, 0xbf27a4f4, v5, -v4
	v_add_f32_e32 v5, v7, v9
	v_mul_f32_e32 v7, 0xbf4178ce, v6
	v_add_f32_e32 v9, v41, v19
	v_fmamk_f32 v19, v8, 0x3f4178ce, v14
	v_add_f32_e32 v10, v36, v10
	v_add_f32_e32 v4, v4, v11
	v_fmamk_f32 v11, v5, 0xbf27a4f4, v7
	v_mul_f32_e32 v36, 0xbe11bafb, v40
	v_fma_f32 v7, 0xbf27a4f4, v5, -v7
	v_add_f32_e32 v15, v19, v15
	v_fmac_f32_e32 v14, 0xbf4178ce, v8
	v_add_f32_e32 v11, v11, v17
	v_fmamk_f32 v17, v8, 0xbf7d64f0, v36
	v_mul_f32_e32 v19, 0x3f7d64f0, v6
	v_add_f32_e32 v7, v7, v13
	v_mul_f32_e32 v13, 0x3f575c64, v40
	v_add_f32_e32 v33, v45, v33
	v_add_f32_e32 v14, v14, v24
	;; [unrolled: 1-line block ×3, first 2 shown]
	v_fmamk_f32 v17, v5, 0xbe11bafb, v19
	v_fmac_f32_e32 v36, 0x3f7d64f0, v8
	v_fma_f32 v19, 0xbe11bafb, v5, -v19
	v_fmamk_f32 v24, v8, 0x3f0a6770, v13
	v_mul_f32_e32 v41, 0xbf0a6770, v6
	v_add_f32_e32 v17, v17, v28
	v_add_f32_e32 v12, v36, v12
	;; [unrolled: 1-line block ×4, first 2 shown]
	v_fmamk_f32 v28, v5, 0x3f575c64, v41
	v_mul_f32_e32 v29, 0xbf75a155, v40
	v_fmac_f32_e32 v13, 0xbf0a6770, v8
	v_fma_f32 v33, 0x3f575c64, v5, -v41
	v_mul_f32_e32 v36, 0xbe903f40, v6
	v_add_f32_e32 v38, v44, v38
	v_add_f32_e32 v28, v28, v32
	v_fmamk_f32 v32, v8, 0x3e903f40, v29
	v_add_f32_e32 v18, v13, v18
	v_add_f32_e32 v25, v33, v25
	v_fmamk_f32 v13, v5, 0xbf75a155, v36
	v_mul_f32_e32 v33, 0x3ed4b147, v40
	v_add_f32_e32 v34, v37, v34
	v_add_f32_e32 v37, v42, v43
	;; [unrolled: 1-line block ×3, first 2 shown]
	v_fmac_f32_e32 v29, 0xbe903f40, v8
	v_fma_f32 v36, 0xbf75a155, v5, -v36
	v_add_f32_e32 v38, v13, v39
	v_fmamk_f32 v13, v8, 0xbf68dda4, v33
	v_mul_f32_e32 v6, 0x3f68dda4, v6
	v_add_f32_e32 v29, v29, v34
	v_add_f32_e32 v34, v36, v35
	;; [unrolled: 1-line block ×4, first 2 shown]
	v_sub_f32_e32 v37, v0, v2
	v_sub_f32_e32 v39, v1, v3
	v_fma_f32 v2, 0x3ed4b147, v5, -v6
	v_mul_f32_e32 v0, 0xbf75a155, v35
	v_add_f32_e32 v40, v1, v3
	v_mul_f32_e32 v1, 0xbe903f40, v37
	v_fmamk_f32 v13, v5, 0x3ed4b147, v6
	v_fmac_f32_e32 v33, 0x3f68dda4, v8
	v_fmamk_f32 v3, v39, 0x3e903f40, v0
	v_add_f32_e32 v42, v2, v4
	v_fmamk_f32 v4, v40, 0xbf75a155, v1
	v_mul_f32_e32 v6, 0x3f575c64, v35
	v_fma_f32 v1, 0xbf75a155, v40, -v1
	v_mul_f32_e32 v5, 0x3f0a6770, v37
	v_mul_f32_e32 v8, 0xbf27a4f4, v35
	v_add_f32_e32 v33, v33, v10
	v_add_f32_e32 v2, v3, v15
	;; [unrolled: 1-line block ×3, first 2 shown]
	v_fmamk_f32 v4, v39, 0xbf0a6770, v6
	v_add_f32_e32 v1, v1, v7
	v_fmamk_f32 v7, v40, 0x3f575c64, v5
	v_fmac_f32_e32 v6, 0x3f0a6770, v39
	v_fmamk_f32 v10, v39, 0x3f4178ce, v8
	v_add_f32_e32 v41, v13, v9
	v_fmac_f32_e32 v0, 0xbe903f40, v39
	v_fma_f32 v9, 0x3f575c64, v40, -v5
	v_add_f32_e32 v5, v7, v17
	v_mul_f32_e32 v7, 0xbf4178ce, v37
	v_add_f32_e32 v12, v6, v12
	v_add_f32_e32 v6, v10, v24
	v_mul_f32_e32 v10, 0x3ed4b147, v35
	v_cndmask_b32_e64 v30, 0, 0x2d6, s0
	v_add_f32_e32 v0, v0, v14
	v_add_f32_e32 v13, v9, v19
	v_fmamk_f32 v9, v40, 0xbf27a4f4, v7
	v_fmac_f32_e32 v8, 0xbf4178ce, v39
	v_mul_f32_e32 v11, 0x3f68dda4, v37
	v_fma_f32 v14, 0xbf27a4f4, v40, -v7
	v_fmamk_f32 v15, v39, 0xbf68dda4, v10
	v_lshl_add_u32 v24, v30, 3, 0
	v_add_f32_e32 v4, v4, v16
	v_add_f32_e32 v7, v9, v28
	;; [unrolled: 1-line block ×3, first 2 shown]
	v_fmamk_f32 v9, v40, 0x3ed4b147, v11
	v_add_f32_e32 v17, v14, v25
	v_add_f32_e32 v8, v15, v32
	v_fmac_f32_e32 v10, 0x3f68dda4, v39
	v_fma_f32 v11, 0x3ed4b147, v40, -v11
	v_mul_f32_e32 v14, 0xbe11bafb, v35
	v_mul_f32_e32 v15, 0xbf7d64f0, v37
	v_mad_u32_u24 v25, 0x58, v26, v24
	v_add_f32_e32 v18, v10, v29
	v_add_f32_e32 v19, v11, v34
	v_fmamk_f32 v10, v39, 0x3f7d64f0, v14
	v_fmamk_f32 v11, v40, 0xbe11bafb, v15
	v_fmac_f32_e32 v14, 0xbf7d64f0, v39
	v_fma_f32 v15, 0xbe11bafb, v40, -v15
	v_mad_i32_i24 v29, 0xffffffb0, v26, v25
	v_add_f32_e32 v9, v9, v38
	v_add_f32_e32 v10, v10, v36
	;; [unrolled: 1-line block ×5, first 2 shown]
	ds_write2_b64 v25, v[22:23], v[2:3] offset1:1
	ds_write2_b64 v25, v[4:5], v[6:7] offset0:2 offset1:3
	ds_write2_b64 v25, v[8:9], v[10:11] offset0:4 offset1:5
	v_add_nc_u32_e32 v2, 0x800, v29
	v_lshl_add_u32 v28, v26, 3, v24
	ds_write2_b64 v25, v[14:15], v[18:19] offset0:6 offset1:7
	ds_write2_b64 v25, v[16:17], v[12:13] offset0:8 offset1:9
	ds_write_b64 v25, v[0:1] offset:80
	s_waitcnt lgkmcnt(0)
	s_barrier
	buffer_gl0_inv
	ds_read2_b64 v[8:11], v29 offset0:121 offset1:242
	ds_read2_b64 v[4:7], v2 offset0:107 offset1:228
	ds_read_b64 v[22:23], v28
	ds_read_b64 v[24:25], v29 offset:4840
	v_cmp_gt_u32_e64 s0, 55, v26
	v_lshlrev_b32_e32 v32, 3, v27
	v_lshlrev_b32_e32 v30, 3, v30
	s_and_saveexec_b32 s1, s0
	s_cbranch_execz .LBB0_15
; %bb.14:
	v_add_nc_u32_e32 v0, 0x400, v29
	v_add_nc_u32_e32 v1, 0xc00, v29
	;; [unrolled: 1-line block ×3, first 2 shown]
	ds_read2_b64 v[33:36], v0 offset0:59 offset1:180
	v_add3_u32 v0, 0, v32, v30
	ds_read_b64 v[14:15], v0
	ds_read2_b32 v[12:13], v1 offset0:90 offset1:91
	ds_read2_b64 v[0:3], v2 offset0:38 offset1:159
	s_waitcnt lgkmcnt(3)
	v_mov_b32_e32 v17, v36
	v_mov_b32_e32 v16, v35
	;; [unrolled: 1-line block ×4, first 2 shown]
.LBB0_15:
	s_or_b32 exec_lo, exec_lo, s1
	v_and_b32_e32 v33, 0xff, v26
	v_mul_lo_u16 v33, 0x75, v33
	v_lshrrev_b16 v33, 8, v33
	v_sub_nc_u16 v34, v26, v33
	v_lshrrev_b16 v34, 1, v34
	v_and_b32_e32 v34, 0x7f, v34
	v_add_nc_u16 v33, v34, v33
	v_lshrrev_b16 v34, 3, v33
	v_mov_b32_e32 v33, 5
	v_mul_lo_u16 v35, v34, 11
	v_and_b32_e32 v46, 0xffff, v34
	v_mov_b32_e32 v34, 3
	v_sub_nc_u16 v45, v26, v35
	v_mad_u32_u24 v46, 0x210, v46, 0
	v_mul_u32_u24_sdwa v35, v45, v33 dst_sel:DWORD dst_unused:UNUSED_PAD src0_sel:BYTE_0 src1_sel:DWORD
	v_lshlrev_b32_sdwa v45, v34, v45 dst_sel:DWORD dst_unused:UNUSED_PAD src0_sel:DWORD src1_sel:BYTE_0
	v_lshlrev_b32_e32 v43, 3, v35
	v_add3_u32 v45, v46, v45, v30
	s_clause 0x2
	global_load_dwordx4 v[35:38], v43, s[8:9]
	global_load_dwordx4 v[39:42], v43, s[8:9] offset:16
	global_load_dwordx2 v[43:44], v43, s[8:9] offset:32
	s_waitcnt vmcnt(0) lgkmcnt(0)
	s_barrier
	buffer_gl0_inv
	v_mul_f32_e32 v46, v36, v9
	v_mul_f32_e32 v36, v36, v8
	;; [unrolled: 1-line block ×10, first 2 shown]
	v_fmac_f32_e32 v36, v35, v9
	v_fma_f32 v9, v37, v10, -v47
	v_fmac_f32_e32 v38, v37, v11
	v_fma_f32 v4, v39, v4, -v48
	;; [unrolled: 2-line block ×5, first 2 shown]
	v_add_f32_e32 v10, v9, v5
	v_sub_f32_e32 v11, v38, v42
	v_add_f32_e32 v24, v23, v38
	v_add_f32_e32 v25, v38, v42
	;; [unrolled: 1-line block ×3, first 2 shown]
	v_sub_f32_e32 v38, v40, v44
	v_add_f32_e32 v39, v36, v40
	v_add_f32_e32 v40, v40, v44
	;; [unrolled: 1-line block ×3, first 2 shown]
	v_sub_f32_e32 v9, v9, v5
	v_add_f32_e32 v35, v8, v4
	v_sub_f32_e32 v4, v4, v6
	v_fma_f32 v22, -0.5, v10, v22
	v_fmac_f32_e32 v23, -0.5, v25
	v_fmac_f32_e32 v8, -0.5, v37
	;; [unrolled: 1-line block ×3, first 2 shown]
	v_add_f32_e32 v6, v35, v6
	v_fmamk_f32 v25, v11, 0x3f5db3d7, v22
	v_fmac_f32_e32 v22, 0xbf5db3d7, v11
	v_fmamk_f32 v35, v9, 0xbf5db3d7, v23
	v_fmac_f32_e32 v23, 0x3f5db3d7, v9
	v_fmamk_f32 v9, v38, 0x3f5db3d7, v8
	v_fmamk_f32 v11, v4, 0xbf5db3d7, v36
	v_fmac_f32_e32 v8, 0xbf5db3d7, v38
	v_fmac_f32_e32 v36, 0x3f5db3d7, v4
	v_add_f32_e32 v10, v24, v42
	v_add_f32_e32 v24, v39, v44
	v_mul_f32_e32 v37, 0x3f5db3d7, v11
	v_mul_f32_e32 v39, 0xbf5db3d7, v9
	v_mul_f32_e32 v38, -0.5, v8
	v_mul_f32_e32 v40, -0.5, v36
	v_add_f32_e32 v7, v7, v5
	v_fmac_f32_e32 v37, 0.5, v9
	v_fmac_f32_e32 v39, 0.5, v11
	v_fmac_f32_e32 v38, 0x3f5db3d7, v36
	v_fmac_f32_e32 v40, 0xbf5db3d7, v8
	v_add_f32_e32 v4, v7, v6
	v_add_f32_e32 v5, v10, v24
	;; [unrolled: 1-line block ×4, first 2 shown]
	v_sub_f32_e32 v6, v7, v6
	v_sub_f32_e32 v7, v10, v24
	v_add_f32_e32 v10, v22, v38
	v_add_f32_e32 v11, v23, v40
	v_sub_f32_e32 v24, v25, v37
	v_sub_f32_e32 v22, v22, v38
	v_sub_f32_e32 v25, v35, v39
	v_sub_f32_e32 v23, v23, v40
	ds_write2_b64 v45, v[4:5], v[8:9] offset1:11
	ds_write2_b64 v45, v[10:11], v[6:7] offset0:22 offset1:33
	ds_write2_b64 v45, v[24:25], v[22:23] offset0:44 offset1:55
	s_and_saveexec_b32 s1, s0
	s_cbranch_execz .LBB0_17
; %bb.16:
	v_and_b32_e32 v4, 0xff, v27
	v_mul_lo_u16 v4, 0x75, v4
	v_lshrrev_b16 v4, 8, v4
	v_sub_nc_u16 v5, v27, v4
	v_lshrrev_b16 v5, 1, v5
	v_and_b32_e32 v5, 0x7f, v5
	v_add_nc_u16 v4, v5, v4
	v_lshrrev_b16 v24, 3, v4
	v_mul_lo_u16 v4, v24, 11
	v_and_b32_e32 v24, 0xffff, v24
	v_sub_nc_u16 v25, v27, v4
	v_mad_u32_u24 v24, 0x210, v24, 0
	v_mul_u32_u24_sdwa v4, v25, v33 dst_sel:DWORD dst_unused:UNUSED_PAD src0_sel:BYTE_0 src1_sel:DWORD
	v_lshlrev_b32_sdwa v25, v34, v25 dst_sel:DWORD dst_unused:UNUSED_PAD src0_sel:DWORD src1_sel:BYTE_0
	v_lshlrev_b32_e32 v22, 3, v4
	v_add3_u32 v24, v24, v25, v30
	s_clause 0x2
	global_load_dwordx4 v[4:7], v22, s[8:9]
	global_load_dwordx4 v[8:11], v22, s[8:9] offset:16
	global_load_dwordx2 v[22:23], v22, s[8:9] offset:32
	s_waitcnt vmcnt(2)
	v_mul_f32_e32 v25, v17, v7
	s_waitcnt vmcnt(1)
	v_mul_f32_e32 v27, v1, v11
	v_mul_f32_e32 v7, v16, v7
	;; [unrolled: 1-line block ×4, first 2 shown]
	s_waitcnt vmcnt(0)
	v_mul_f32_e32 v35, v3, v23
	v_mul_f32_e32 v9, v12, v9
	;; [unrolled: 1-line block ×5, first 2 shown]
	v_fma_f32 v16, v16, v6, -v25
	v_fmac_f32_e32 v7, v17, v6
	v_fmac_f32_e32 v11, v1, v10
	v_fma_f32 v6, v12, v8, -v34
	v_fma_f32 v2, v2, v22, -v35
	v_fmac_f32_e32 v9, v13, v8
	v_fmac_f32_e32 v23, v3, v22
	v_fma_f32 v0, v0, v10, -v27
	v_fma_f32 v1, v18, v4, -v33
	v_fmac_f32_e32 v5, v19, v4
	v_add_f32_e32 v4, v7, v11
	v_add_f32_e32 v8, v6, v2
	v_add_f32_e32 v13, v9, v23
	v_sub_f32_e32 v3, v16, v0
	v_sub_f32_e32 v10, v9, v23
	;; [unrolled: 1-line block ×3, first 2 shown]
	v_add_f32_e32 v17, v15, v7
	v_add_f32_e32 v9, v5, v9
	;; [unrolled: 1-line block ×4, first 2 shown]
	v_fma_f32 v15, -0.5, v4, v15
	v_fma_f32 v4, -0.5, v8, v1
	v_fma_f32 v5, -0.5, v13, v5
	v_sub_f32_e32 v7, v7, v11
	v_add_f32_e32 v8, v17, v11
	v_fma_f32 v13, -0.5, v18, v14
	v_add_f32_e32 v11, v16, v0
	v_fmamk_f32 v14, v10, 0xbf5db3d7, v4
	v_fmamk_f32 v16, v12, 0x3f5db3d7, v5
	v_fmac_f32_e32 v5, 0xbf5db3d7, v12
	v_fmac_f32_e32 v4, 0x3f5db3d7, v10
	v_add_f32_e32 v6, v1, v6
	v_mul_f32_e32 v18, -0.5, v14
	v_mul_f32_e32 v10, -0.5, v16
	v_mul_f32_e32 v19, 0x3f5db3d7, v5
	v_mul_f32_e32 v17, 0xbf5db3d7, v4
	v_add_f32_e32 v9, v9, v23
	v_add_f32_e32 v2, v6, v2
	v_fmamk_f32 v6, v3, 0x3f5db3d7, v15
	v_fmac_f32_e32 v15, 0xbf5db3d7, v3
	v_fmamk_f32 v12, v7, 0xbf5db3d7, v13
	v_fmac_f32_e32 v13, 0x3f5db3d7, v7
	v_fmac_f32_e32 v10, 0xbf5db3d7, v14
	v_fmac_f32_e32 v17, 0.5, v5
	v_fmac_f32_e32 v19, 0.5, v4
	v_fmac_f32_e32 v18, 0x3f5db3d7, v16
	v_sub_f32_e32 v1, v8, v9
	v_sub_f32_e32 v0, v11, v2
	v_add_f32_e32 v3, v8, v9
	v_add_f32_e32 v2, v11, v2
	v_sub_f32_e32 v5, v6, v10
	v_add_f32_e32 v9, v6, v10
	v_add_f32_e32 v11, v15, v17
	;; [unrolled: 1-line block ×4, first 2 shown]
	v_sub_f32_e32 v7, v15, v17
	v_sub_f32_e32 v4, v12, v18
	;; [unrolled: 1-line block ×3, first 2 shown]
	ds_write2_b64 v24, v[2:3], v[10:11] offset1:11
	ds_write2_b64 v24, v[8:9], v[0:1] offset0:22 offset1:33
	ds_write2_b64 v24, v[6:7], v[4:5] offset0:44 offset1:55
.LBB0_17:
	s_or_b32 exec_lo, exec_lo, s1
	s_waitcnt lgkmcnt(0)
	s_barrier
	buffer_gl0_inv
	s_and_saveexec_b32 s0, vcc_lo
	s_cbranch_execz .LBB0_19
; %bb.18:
	v_mul_u32_u24_e32 v0, 10, v26
	v_mad_u64_u32 v[25:26], null, s2, v31, 0
	v_add_nc_u32_e32 v36, 0x42, v31
	v_add3_u32 v24, 0, v32, v30
	v_lshlrev_b32_e32 v0, 3, v0
	v_add_nc_u32_e32 v42, 0x1000, v29
	v_add_nc_u32_e32 v50, 0x800, v29
	v_add_co_u32 v32, vcc_lo, s12, v20
	s_clause 0x4
	global_load_dwordx4 v[12:15], v0, s[8:9] offset:440
	global_load_dwordx4 v[16:19], v0, s[8:9] offset:504
	;; [unrolled: 1-line block ×5, first 2 shown]
	v_mov_b32_e32 v20, v26
	ds_read_b64 v[54:55], v29 offset:5280
	ds_read_b64 v[27:28], v28
	ds_read2_b64 v[38:41], v29 offset0:132 offset1:198
	v_mad_u64_u32 v[29:30], null, s2, v36, 0
	ds_read_b64 v[56:57], v24
	ds_read2_b64 v[42:45], v42 offset0:16 offset1:82
	ds_read2_b64 v[46:49], v50 offset0:8 offset1:74
	;; [unrolled: 1-line block ×3, first 2 shown]
	v_add_nc_u32_e32 v37, 0x84, v31
	v_mad_u64_u32 v[34:35], null, s3, v31, v[20:21]
	v_add_nc_u32_e32 v58, 0xc6, v31
	v_mov_b32_e32 v24, v30
	v_mad_u64_u32 v[22:23], null, s2, v37, 0
	v_add_co_ci_u32_e32 v33, vcc_lo, s13, v21, vcc_lo
	v_mov_b32_e32 v26, v34
	v_mad_u64_u32 v[20:21], null, s2, v58, 0
	v_mad_u64_u32 v[35:36], null, s3, v36, v[24:25]
	;; [unrolled: 1-line block ×3, first 2 shown]
	v_lshlrev_b64 v[36:37], 3, v[25:26]
	v_mad_u64_u32 v[24:25], null, s3, v58, v[21:22]
	v_mov_b32_e32 v30, v35
	v_add_co_u32 v25, vcc_lo, v32, v36
	v_add_co_ci_u32_e32 v26, vcc_lo, v33, v37, vcc_lo
	s_waitcnt vmcnt(4) lgkmcnt(3)
	v_mul_f32_e32 v58, v13, v57
	s_waitcnt vmcnt(3)
	v_mul_f32_e32 v59, v19, v55
	v_mul_f32_e32 v21, v18, v55
	;; [unrolled: 1-line block ×4, first 2 shown]
	s_waitcnt lgkmcnt(2)
	v_mul_f32_e32 v60, v17, v45
	v_mul_f32_e32 v34, v16, v45
	;; [unrolled: 1-line block ×3, first 2 shown]
	s_waitcnt vmcnt(2)
	v_mul_f32_e32 v45, v5, v41
	s_waitcnt vmcnt(1)
	v_mul_f32_e32 v61, v11, v43
	v_mul_f32_e32 v35, v10, v43
	;; [unrolled: 1-line block ×3, first 2 shown]
	s_waitcnt lgkmcnt(1)
	v_mul_f32_e32 v43, v7, v47
	s_waitcnt lgkmcnt(0)
	v_mul_f32_e32 v62, v9, v53
	v_mul_f32_e32 v36, v8, v53
	s_waitcnt vmcnt(0)
	v_mul_f32_e32 v53, v1, v49
	v_mul_f32_e32 v63, v3, v51
	;; [unrolled: 1-line block ×5, first 2 shown]
	v_fma_f32 v18, v18, v54, -v59
	v_fmac_f32_e32 v21, v54, v19
	v_fma_f32 v16, v16, v44, -v60
	v_fmac_f32_e32 v34, v44, v17
	;; [unrolled: 2-line block ×4, first 2 shown]
	v_fma_f32 v14, v4, v40, -v45
	v_fma_f32 v4, v10, v42, -v61
	v_fmac_f32_e32 v41, v5, v40
	v_fma_f32 v6, v6, v46, -v43
	v_fma_f32 v5, v8, v52, -v62
	;; [unrolled: 1-line block ×4, first 2 shown]
	v_fmac_f32_e32 v35, v42, v11
	v_fmac_f32_e32 v36, v52, v9
	;; [unrolled: 1-line block ×5, first 2 shown]
	v_sub_f32_e32 v1, v12, v18
	v_sub_f32_e32 v3, v13, v16
	;; [unrolled: 1-line block ×3, first 2 shown]
	v_add_f32_e32 v11, v12, v18
	v_sub_f32_e32 v15, v55, v21
	v_sub_f32_e32 v19, v39, v34
	v_add_f32_e32 v38, v55, v28
	v_add_f32_e32 v12, v12, v27
	v_sub_f32_e32 v40, v6, v5
	v_sub_f32_e32 v43, v8, v0
	v_add_f32_e32 v2, v55, v21
	v_add_f32_e32 v7, v39, v34
	;; [unrolled: 1-line block ×6, first 2 shown]
	v_mul_f32_e32 v52, 0xbe903f40, v1
	v_mul_f32_e32 v53, 0x3f0a6770, v3
	;; [unrolled: 1-line block ×15, first 2 shown]
	v_add_f32_e32 v38, v38, v39
	v_add_f32_e32 v12, v12, v13
	v_mul_f32_e32 v13, 0x3f7d64f0, v3
	v_mul_f32_e32 v39, 0x3e903f40, v3
	;; [unrolled: 1-line block ×20, first 2 shown]
	v_sub_f32_e32 v45, v41, v35
	v_fmamk_f32 v89, v2, 0xbf75a155, v52
	v_fma_f32 v90, 0xbf75a155, v11, -v54
	v_fmamk_f32 v91, v2, 0xbf27a4f4, v56
	v_fma_f32 v92, 0xbf27a4f4, v11, -v57
	;; [unrolled: 2-line block ×5, first 2 shown]
	v_fma_f32 v56, 0xbf27a4f4, v2, -v56
	v_fma_f32 v58, 0xbe11bafb, v2, -v58
	;; [unrolled: 1-line block ×5, first 2 shown]
	v_fmac_f32_e32 v54, 0xbf75a155, v11
	v_fmac_f32_e32 v57, 0xbf27a4f4, v11
	;; [unrolled: 1-line block ×5, first 2 shown]
	v_fmamk_f32 v11, v7, 0x3f575c64, v53
	v_fma_f32 v98, 0x3f575c64, v17, -v55
	v_fmamk_f32 v99, v10, 0xbf27a4f4, v62
	v_fmamk_f32 v100, v42, 0x3ed4b147, v63
	;; [unrolled: 1-line block ×3, first 2 shown]
	v_fma_f32 v53, 0x3f575c64, v7, -v53
	v_fmamk_f32 v102, v7, 0xbe11bafb, v13
	v_fma_f32 v13, 0xbe11bafb, v7, -v13
	v_fmamk_f32 v103, v7, 0xbf75a155, v39
	v_fma_f32 v39, 0xbf75a155, v7, -v39
	v_fmamk_f32 v104, v7, 0xbf27a4f4, v65
	v_fma_f32 v65, 0xbf27a4f4, v7, -v65
	v_fmamk_f32 v105, v7, 0x3ed4b147, v3
	v_fma_f32 v3, 0x3ed4b147, v7, -v3
	v_fma_f32 v62, 0xbf27a4f4, v10, -v62
	v_fmamk_f32 v106, v10, 0x3f575c64, v66
	v_fma_f32 v66, 0x3f575c64, v10, -v66
	v_fmamk_f32 v107, v10, 0x3ed4b147, v67
	v_fma_f32 v67, 0x3ed4b147, v10, -v67
	v_fmamk_f32 v108, v10, 0xbf75a155, v68
	v_fma_f32 v68, 0xbf75a155, v10, -v68
	v_fmamk_f32 v109, v10, 0xbe11bafb, v9
	v_fma_f32 v9, 0xbe11bafb, v10, -v9
	;; [unrolled: 9-line block ×4, first 2 shown]
	v_fmac_f32_e32 v55, 0x3f575c64, v17
	v_fma_f32 v7, 0xbe11bafb, v17, -v75
	v_fmac_f32_e32 v75, 0xbe11bafb, v17
	v_fma_f32 v44, 0xbf75a155, v17, -v76
	;; [unrolled: 2-line block ×4, first 2 shown]
	v_fmac_f32_e32 v19, 0x3ed4b147, v17
	v_add_f32_e32 v17, v38, v41
	v_add_f32_e32 v12, v12, v14
	;; [unrolled: 1-line block ×3, first 2 shown]
	v_sub_f32_e32 v48, v47, v36
	v_mul_f32_e32 v79, 0xbf0a6770, v45
	v_add_f32_e32 v89, v89, v28
	v_add_f32_e32 v90, v90, v27
	;; [unrolled: 1-line block ×7, first 2 shown]
	v_sub_f32_e32 v51, v49, v37
	v_mul_f32_e32 v78, 0xbf4178ce, v45
	v_mul_f32_e32 v80, 0x3f68dda4, v45
	v_mul_f32_e32 v81, 0x3e903f40, v45
	v_mul_f32_e32 v45, 0xbf7d64f0, v45
	v_mul_f32_e32 v83, 0xbe903f40, v48
	v_fma_f32 v38, 0x3f575c64, v46, -v79
	v_add_f32_e32 v93, v93, v28
	v_add_f32_e32 v95, v95, v28
	;; [unrolled: 1-line block ×16, first 2 shown]
	v_mul_f32_e32 v87, 0x3f68dda4, v51
	v_fma_f32 v119, 0xbe11bafb, v46, -v45
	v_fmac_f32_e32 v45, 0xbe11bafb, v46
	v_fma_f32 v120, 0xbf75a155, v50, -v83
	v_add_f32_e32 v54, v54, v27
	v_add_f32_e32 v12, v52, v53
	v_add_f32_e32 v3, v28, v3
	v_add_f32_e32 v15, v15, v19
	v_add_f32_e32 v19, v89, v106
	v_add_f32_e32 v28, v90, v38
	v_add_f32_e32 v17, v17, v37
	v_add_f32_e32 v0, v8, v0
	v_mul_f32_e32 v82, 0x3f68dda4, v48
	v_fma_f32 v14, 0xbf27a4f4, v46, -v78
	v_fmac_f32_e32 v78, 0xbf27a4f4, v46
	v_fma_f32 v125, 0x3ed4b147, v1, -v87
	v_add_f32_e32 v49, v54, v55
	v_add_f32_e32 v8, v12, v62
	v_add_f32_e32 v3, v3, v9
	v_add_f32_e32 v9, v15, v45
	v_add_f32_e32 v15, v19, v63
	v_add_f32_e32 v19, v28, v120
	v_add_f32_e32 v17, v36, v17
	v_add_f32_e32 v0, v5, v0
	v_mul_f32_e32 v84, 0xbf0a6770, v48
	v_mul_f32_e32 v85, 0x3f7d64f0, v48
	;; [unrolled: 1-line block ×4, first 2 shown]
	v_fmac_f32_e32 v79, 0x3f575c64, v46
	v_fma_f32 v41, 0x3ed4b147, v46, -v80
	v_fmac_f32_e32 v80, 0x3ed4b147, v46
	v_fma_f32 v118, 0xbf75a155, v46, -v81
	;; [unrolled: 2-line block ×3, first 2 shown]
	v_fmac_f32_e32 v82, 0x3ed4b147, v50
	v_add_f32_e32 v12, v49, v78
	v_add_f32_e32 v5, v8, v10
	;; [unrolled: 1-line block ×5, first 2 shown]
	v_mul_f32_e32 v88, 0xbf4178ce, v51
	v_fmac_f32_e32 v83, 0xbf75a155, v50
	v_fma_f32 v121, 0x3f575c64, v50, -v84
	v_fmac_f32_e32 v84, 0x3f575c64, v50
	v_add_f32_e32 v94, v94, v27
	v_add_f32_e32 v96, v96, v27
	;; [unrolled: 1-line block ×6, first 2 shown]
	v_fma_f32 v27, 0xbe11bafb, v50, -v85
	v_fmac_f32_e32 v85, 0xbe11bafb, v50
	v_fma_f32 v123, 0xbf27a4f4, v50, -v48
	v_fmac_f32_e32 v48, 0xbf27a4f4, v50
	v_mul_f32_e32 v50, 0x3f0a6770, v51
	v_mul_f32_e32 v51, 0xbe903f40, v51
	v_add_nc_u32_e32 v91, 0x108, v31
	v_fma_f32 v124, 0xbe11bafb, v1, -v86
	v_fmac_f32_e32 v86, 0xbe11bafb, v1
	v_add_f32_e32 v36, v12, v82
	v_add_f32_e32 v4, v5, v42
	;; [unrolled: 1-line block ×4, first 2 shown]
	v_fmac_f32_e32 v87, 0x3ed4b147, v1
	v_fma_f32 v126, 0xbf27a4f4, v1, -v88
	v_fmac_f32_e32 v88, 0xbf27a4f4, v1
	v_fma_f32 v127, 0x3f575c64, v1, -v50
	;; [unrolled: 2-line block ×3, first 2 shown]
	v_fmac_f32_e32 v51, 0xbf75a155, v1
	v_mad_u64_u32 v[1:2], null, s2, v91, 0
	v_lshlrev_b64 v[6:7], 3, v[29:30]
	v_add_f32_e32 v40, v3, v40
	v_add_f32_e32 v3, v36, v86
	;; [unrolled: 1-line block ×10, first 2 shown]
	v_add_co_u32 v5, vcc_lo, v32, v6
	global_store_dwordx2 v[25:26], v[18:19], off
	v_lshlrev_b64 v[18:19], 3, v[22:23]
	v_mad_u64_u32 v[22:23], null, s3, v91, v[2:3]
	v_add_co_ci_u32_e32 v6, vcc_lo, v33, v7, vcc_lo
	v_add_nc_u32_e32 v7, 0x14a, v31
	v_add_f32_e32 v13, v56, v13
	v_add_f32_e32 v11, v11, v99
	;; [unrolled: 1-line block ×9, first 2 shown]
	v_mad_u64_u32 v[25:26], null, s2, v7, 0
	v_mov_b32_e32 v2, v22
	v_add_f32_e32 v13, v13, v66
	v_add_f32_e32 v11, v11, v100
	v_add_f32_e32 v14, v14, v46
	v_add_f32_e32 v28, v38, v110
	v_add_f32_e32 v38, v41, v121
	v_add_f32_e32 v41, v44, v111
	v_add_f32_e32 v27, v47, v27
	v_add_f32_e32 v29, v29, v112
	v_add_f32_e32 v30, v30, v123
	v_add_co_u32 v18, vcc_lo, v32, v18
	v_lshlrev_b64 v[1:2], 3, v[1:2]
	v_add_f32_e32 v44, v13, v69
	v_add_f32_e32 v48, v9, v48
	;; [unrolled: 1-line block ×10, first 2 shown]
	v_add_co_ci_u32_e32 v19, vcc_lo, v33, v19, vcc_lo
	v_mov_b32_e32 v0, v26
	v_mov_b32_e32 v21, v24
	global_store_dwordx2 v[5:6], v[27:28], off
	global_store_dwordx2 v[18:19], v[14:15], off
	v_add_f32_e32 v12, v38, v126
	v_mad_u64_u32 v[14:15], null, s3, v7, v[0:1]
	v_add_nc_u32_e32 v7, 0x18c, v31
	v_lshlrev_b64 v[5:6], 3, v[20:21]
	v_add_nc_u32_e32 v18, 0x1ce, v31
	v_add_nc_u32_e32 v20, 0x210, v31
	;; [unrolled: 1-line block ×4, first 2 shown]
	v_mov_b32_e32 v26, v14
	v_mad_u64_u32 v[14:15], null, s2, v7, 0
	v_add_co_u32 v5, vcc_lo, v32, v5
	v_add_co_ci_u32_e32 v6, vcc_lo, v33, v6, vcc_lo
	v_add_co_u32 v0, vcc_lo, v32, v1
	v_add_co_ci_u32_e32 v1, vcc_lo, v33, v2, vcc_lo
	v_mov_b32_e32 v2, v15
	global_store_dwordx2 v[5:6], v[12:13], off
	v_mad_u64_u32 v[5:6], null, s2, v18, 0
	global_store_dwordx2 v[0:1], v[10:11], off
	v_lshlrev_b64 v[0:1], 3, v[25:26]
	v_mad_u64_u32 v[10:11], null, s2, v20, 0
	v_mad_u64_u32 v[12:13], null, s3, v7, v[2:3]
	;; [unrolled: 1-line block ×3, first 2 shown]
	v_add_co_u32 v0, vcc_lo, v32, v0
	v_mad_u64_u32 v[18:19], null, s2, v22, 0
	v_add_co_ci_u32_e32 v1, vcc_lo, v33, v1, vcc_lo
	v_mov_b32_e32 v2, v11
	v_mov_b32_e32 v15, v12
	v_mad_u64_u32 v[12:13], null, s2, v23, 0
	global_store_dwordx2 v[0:1], v[8:9], off
	v_mad_u64_u32 v[20:21], null, s3, v20, v[2:3]
	v_lshlrev_b64 v[1:2], 3, v[14:15]
	v_mov_b32_e32 v0, v19
	v_lshlrev_b64 v[5:6], 3, v[5:6]
	v_add_f32_e32 v52, v57, v75
	v_add_f32_e32 v39, v58, v39
	;; [unrolled: 1-line block ×3, first 2 shown]
	v_mad_u64_u32 v[7:8], null, s3, v22, v[0:1]
	v_mov_b32_e32 v0, v13
	v_add_co_u32 v1, vcc_lo, v32, v1
	v_mov_b32_e32 v11, v20
	v_add_f32_e32 v54, v60, v65
	v_add_f32_e32 v55, v61, v77
	v_mad_u64_u32 v[8:9], null, s3, v23, v[0:1]
	v_lshlrev_b64 v[9:10], 3, v[10:11]
	v_mov_b32_e32 v19, v7
	v_add_co_ci_u32_e32 v2, vcc_lo, v33, v2, vcc_lo
	v_add_f32_e32 v37, v52, v79
	v_add_co_u32 v5, vcc_lo, v32, v5
	v_mov_b32_e32 v13, v8
	v_add_f32_e32 v39, v39, v67
	v_add_f32_e32 v49, v53, v80
	;; [unrolled: 1-line block ×4, first 2 shown]
	v_add_co_ci_u32_e32 v6, vcc_lo, v33, v6, vcc_lo
	v_lshlrev_b64 v[14:15], 3, v[18:19]
	v_add_co_u32 v7, vcc_lo, v32, v9
	v_add_f32_e32 v37, v37, v83
	v_add_co_ci_u32_e32 v8, vcc_lo, v33, v10, vcc_lo
	v_lshlrev_b64 v[9:10], 3, v[12:13]
	v_add_f32_e32 v39, v39, v70
	v_add_f32_e32 v45, v49, v84
	;; [unrolled: 1-line block ×4, first 2 shown]
	v_add_co_u32 v11, vcc_lo, v32, v14
	v_add_f32_e32 v17, v44, v72
	v_add_f32_e32 v16, v37, v87
	v_add_co_ci_u32_e32 v12, vcc_lo, v33, v15, vcc_lo
	v_add_f32_e32 v30, v39, v73
	v_add_f32_e32 v29, v45, v88
	v_add_co_u32 v9, vcc_lo, v32, v9
	v_add_f32_e32 v35, v46, v74
	v_add_f32_e32 v34, v47, v50
	;; [unrolled: 1-line block ×4, first 2 shown]
	v_add_co_ci_u32_e32 v10, vcc_lo, v33, v10, vcc_lo
	global_store_dwordx2 v[1:2], v[3:4], off
	global_store_dwordx2 v[5:6], v[16:17], off
	;; [unrolled: 1-line block ×5, first 2 shown]
.LBB0_19:
	s_endpgm
	.section	.rodata,"a",@progbits
	.p2align	6, 0x0
	.amdhsa_kernel fft_rtc_fwd_len726_factors_11_6_11_wgs_132_tpt_66_sp_ip_CI_sbrr_dirReg
		.amdhsa_group_segment_fixed_size 0
		.amdhsa_private_segment_fixed_size 0
		.amdhsa_kernarg_size 88
		.amdhsa_user_sgpr_count 6
		.amdhsa_user_sgpr_private_segment_buffer 1
		.amdhsa_user_sgpr_dispatch_ptr 0
		.amdhsa_user_sgpr_queue_ptr 0
		.amdhsa_user_sgpr_kernarg_segment_ptr 1
		.amdhsa_user_sgpr_dispatch_id 0
		.amdhsa_user_sgpr_flat_scratch_init 0
		.amdhsa_user_sgpr_private_segment_size 0
		.amdhsa_wavefront_size32 1
		.amdhsa_uses_dynamic_stack 0
		.amdhsa_system_sgpr_private_segment_wavefront_offset 0
		.amdhsa_system_sgpr_workgroup_id_x 1
		.amdhsa_system_sgpr_workgroup_id_y 0
		.amdhsa_system_sgpr_workgroup_id_z 0
		.amdhsa_system_sgpr_workgroup_info 0
		.amdhsa_system_vgpr_workitem_id 0
		.amdhsa_next_free_vgpr 129
		.amdhsa_next_free_sgpr 23
		.amdhsa_reserve_vcc 1
		.amdhsa_reserve_flat_scratch 0
		.amdhsa_float_round_mode_32 0
		.amdhsa_float_round_mode_16_64 0
		.amdhsa_float_denorm_mode_32 3
		.amdhsa_float_denorm_mode_16_64 3
		.amdhsa_dx10_clamp 1
		.amdhsa_ieee_mode 1
		.amdhsa_fp16_overflow 0
		.amdhsa_workgroup_processor_mode 1
		.amdhsa_memory_ordered 1
		.amdhsa_forward_progress 0
		.amdhsa_shared_vgpr_count 0
		.amdhsa_exception_fp_ieee_invalid_op 0
		.amdhsa_exception_fp_denorm_src 0
		.amdhsa_exception_fp_ieee_div_zero 0
		.amdhsa_exception_fp_ieee_overflow 0
		.amdhsa_exception_fp_ieee_underflow 0
		.amdhsa_exception_fp_ieee_inexact 0
		.amdhsa_exception_int_div_zero 0
	.end_amdhsa_kernel
	.text
.Lfunc_end0:
	.size	fft_rtc_fwd_len726_factors_11_6_11_wgs_132_tpt_66_sp_ip_CI_sbrr_dirReg, .Lfunc_end0-fft_rtc_fwd_len726_factors_11_6_11_wgs_132_tpt_66_sp_ip_CI_sbrr_dirReg
                                        ; -- End function
	.section	.AMDGPU.csdata,"",@progbits
; Kernel info:
; codeLenInByte = 8172
; NumSgprs: 25
; NumVgprs: 129
; ScratchSize: 0
; MemoryBound: 0
; FloatMode: 240
; IeeeMode: 1
; LDSByteSize: 0 bytes/workgroup (compile time only)
; SGPRBlocks: 3
; VGPRBlocks: 16
; NumSGPRsForWavesPerEU: 25
; NumVGPRsForWavesPerEU: 129
; Occupancy: 7
; WaveLimiterHint : 1
; COMPUTE_PGM_RSRC2:SCRATCH_EN: 0
; COMPUTE_PGM_RSRC2:USER_SGPR: 6
; COMPUTE_PGM_RSRC2:TRAP_HANDLER: 0
; COMPUTE_PGM_RSRC2:TGID_X_EN: 1
; COMPUTE_PGM_RSRC2:TGID_Y_EN: 0
; COMPUTE_PGM_RSRC2:TGID_Z_EN: 0
; COMPUTE_PGM_RSRC2:TIDIG_COMP_CNT: 0
	.text
	.p2alignl 6, 3214868480
	.fill 48, 4, 3214868480
	.type	__hip_cuid_98f011b21f29f858,@object ; @__hip_cuid_98f011b21f29f858
	.section	.bss,"aw",@nobits
	.globl	__hip_cuid_98f011b21f29f858
__hip_cuid_98f011b21f29f858:
	.byte	0                               ; 0x0
	.size	__hip_cuid_98f011b21f29f858, 1

	.ident	"AMD clang version 19.0.0git (https://github.com/RadeonOpenCompute/llvm-project roc-6.4.0 25133 c7fe45cf4b819c5991fe208aaa96edf142730f1d)"
	.section	".note.GNU-stack","",@progbits
	.addrsig
	.addrsig_sym __hip_cuid_98f011b21f29f858
	.amdgpu_metadata
---
amdhsa.kernels:
  - .args:
      - .actual_access:  read_only
        .address_space:  global
        .offset:         0
        .size:           8
        .value_kind:     global_buffer
      - .offset:         8
        .size:           8
        .value_kind:     by_value
      - .actual_access:  read_only
        .address_space:  global
        .offset:         16
        .size:           8
        .value_kind:     global_buffer
      - .actual_access:  read_only
        .address_space:  global
        .offset:         24
        .size:           8
        .value_kind:     global_buffer
      - .offset:         32
        .size:           8
        .value_kind:     by_value
      - .actual_access:  read_only
        .address_space:  global
        .offset:         40
        .size:           8
        .value_kind:     global_buffer
      - .actual_access:  read_only
        .address_space:  global
        .offset:         48
        .size:           8
        .value_kind:     global_buffer
      - .offset:         56
        .size:           4
        .value_kind:     by_value
      - .actual_access:  read_only
        .address_space:  global
        .offset:         64
        .size:           8
        .value_kind:     global_buffer
      - .actual_access:  read_only
        .address_space:  global
        .offset:         72
        .size:           8
        .value_kind:     global_buffer
      - .address_space:  global
        .offset:         80
        .size:           8
        .value_kind:     global_buffer
    .group_segment_fixed_size: 0
    .kernarg_segment_align: 8
    .kernarg_segment_size: 88
    .language:       OpenCL C
    .language_version:
      - 2
      - 0
    .max_flat_workgroup_size: 132
    .name:           fft_rtc_fwd_len726_factors_11_6_11_wgs_132_tpt_66_sp_ip_CI_sbrr_dirReg
    .private_segment_fixed_size: 0
    .sgpr_count:     25
    .sgpr_spill_count: 0
    .symbol:         fft_rtc_fwd_len726_factors_11_6_11_wgs_132_tpt_66_sp_ip_CI_sbrr_dirReg.kd
    .uniform_work_group_size: 1
    .uses_dynamic_stack: false
    .vgpr_count:     129
    .vgpr_spill_count: 0
    .wavefront_size: 32
    .workgroup_processor_mode: 1
amdhsa.target:   amdgcn-amd-amdhsa--gfx1030
amdhsa.version:
  - 1
  - 2
...

	.end_amdgpu_metadata
